;; amdgpu-corpus repo=ROCm/rocFFT kind=compiled arch=gfx906 opt=O3
	.text
	.amdgcn_target "amdgcn-amd-amdhsa--gfx906"
	.amdhsa_code_object_version 6
	.protected	fft_rtc_fwd_len1344_factors_2_2_2_2_2_2_3_7_wgs_224_tpt_224_halfLds_sp_op_CI_CI_unitstride_sbrr_C2R_dirReg ; -- Begin function fft_rtc_fwd_len1344_factors_2_2_2_2_2_2_3_7_wgs_224_tpt_224_halfLds_sp_op_CI_CI_unitstride_sbrr_C2R_dirReg
	.globl	fft_rtc_fwd_len1344_factors_2_2_2_2_2_2_3_7_wgs_224_tpt_224_halfLds_sp_op_CI_CI_unitstride_sbrr_C2R_dirReg
	.p2align	8
	.type	fft_rtc_fwd_len1344_factors_2_2_2_2_2_2_3_7_wgs_224_tpt_224_halfLds_sp_op_CI_CI_unitstride_sbrr_C2R_dirReg,@function
fft_rtc_fwd_len1344_factors_2_2_2_2_2_2_3_7_wgs_224_tpt_224_halfLds_sp_op_CI_CI_unitstride_sbrr_C2R_dirReg: ; @fft_rtc_fwd_len1344_factors_2_2_2_2_2_2_3_7_wgs_224_tpt_224_halfLds_sp_op_CI_CI_unitstride_sbrr_C2R_dirReg
; %bb.0:
	s_load_dwordx4 s[8:11], s[4:5], 0x58
	s_load_dwordx4 s[12:15], s[4:5], 0x0
	;; [unrolled: 1-line block ×3, first 2 shown]
	v_mul_u32_u24_e32 v1, 0x125, v0
	v_add_u32_sdwa v5, s6, v1 dst_sel:DWORD dst_unused:UNUSED_PAD src0_sel:DWORD src1_sel:WORD_1
	v_mov_b32_e32 v3, 0
	s_waitcnt lgkmcnt(0)
	v_cmp_lt_u64_e64 s[0:1], s[14:15], 2
	v_mov_b32_e32 v1, 0
	v_mov_b32_e32 v6, v3
	s_and_b64 vcc, exec, s[0:1]
	v_mov_b32_e32 v2, 0
	s_cbranch_vccnz .LBB0_8
; %bb.1:
	s_load_dwordx2 s[0:1], s[4:5], 0x10
	s_add_u32 s2, s18, 8
	s_addc_u32 s3, s19, 0
	s_add_u32 s6, s16, 8
	v_mov_b32_e32 v1, 0
	s_addc_u32 s7, s17, 0
	v_mov_b32_e32 v2, 0
	s_waitcnt lgkmcnt(0)
	s_add_u32 s20, s0, 8
	v_mov_b32_e32 v13, v2
	s_addc_u32 s21, s1, 0
	s_mov_b64 s[22:23], 1
	v_mov_b32_e32 v12, v1
.LBB0_2:                                ; =>This Inner Loop Header: Depth=1
	s_load_dwordx2 s[24:25], s[20:21], 0x0
                                        ; implicit-def: $vgpr14_vgpr15
	s_waitcnt lgkmcnt(0)
	v_or_b32_e32 v4, s25, v6
	v_cmp_ne_u64_e32 vcc, 0, v[3:4]
	s_and_saveexec_b64 s[0:1], vcc
	s_xor_b64 s[26:27], exec, s[0:1]
	s_cbranch_execz .LBB0_4
; %bb.3:                                ;   in Loop: Header=BB0_2 Depth=1
	v_cvt_f32_u32_e32 v4, s24
	v_cvt_f32_u32_e32 v7, s25
	s_sub_u32 s0, 0, s24
	s_subb_u32 s1, 0, s25
	v_mac_f32_e32 v4, 0x4f800000, v7
	v_rcp_f32_e32 v4, v4
	v_mul_f32_e32 v4, 0x5f7ffffc, v4
	v_mul_f32_e32 v7, 0x2f800000, v4
	v_trunc_f32_e32 v7, v7
	v_mac_f32_e32 v4, 0xcf800000, v7
	v_cvt_u32_f32_e32 v7, v7
	v_cvt_u32_f32_e32 v4, v4
	v_mul_lo_u32 v8, s0, v7
	v_mul_hi_u32 v9, s0, v4
	v_mul_lo_u32 v11, s1, v4
	v_mul_lo_u32 v10, s0, v4
	v_add_u32_e32 v8, v9, v8
	v_add_u32_e32 v8, v8, v11
	v_mul_hi_u32 v9, v4, v10
	v_mul_lo_u32 v11, v4, v8
	v_mul_hi_u32 v15, v4, v8
	v_mul_hi_u32 v14, v7, v10
	v_mul_lo_u32 v10, v7, v10
	v_mul_hi_u32 v16, v7, v8
	v_add_co_u32_e32 v9, vcc, v9, v11
	v_addc_co_u32_e32 v11, vcc, 0, v15, vcc
	v_mul_lo_u32 v8, v7, v8
	v_add_co_u32_e32 v9, vcc, v9, v10
	v_addc_co_u32_e32 v9, vcc, v11, v14, vcc
	v_addc_co_u32_e32 v10, vcc, 0, v16, vcc
	v_add_co_u32_e32 v8, vcc, v9, v8
	v_addc_co_u32_e32 v9, vcc, 0, v10, vcc
	v_add_co_u32_e32 v4, vcc, v4, v8
	v_addc_co_u32_e32 v7, vcc, v7, v9, vcc
	v_mul_lo_u32 v8, s0, v7
	v_mul_hi_u32 v9, s0, v4
	v_mul_lo_u32 v10, s1, v4
	v_mul_lo_u32 v11, s0, v4
	v_add_u32_e32 v8, v9, v8
	v_add_u32_e32 v8, v8, v10
	v_mul_lo_u32 v14, v4, v8
	v_mul_hi_u32 v15, v4, v11
	v_mul_hi_u32 v16, v4, v8
	v_mul_hi_u32 v10, v7, v11
	v_mul_lo_u32 v11, v7, v11
	v_mul_hi_u32 v9, v7, v8
	v_add_co_u32_e32 v14, vcc, v15, v14
	v_addc_co_u32_e32 v15, vcc, 0, v16, vcc
	v_mul_lo_u32 v8, v7, v8
	v_add_co_u32_e32 v11, vcc, v14, v11
	v_addc_co_u32_e32 v10, vcc, v15, v10, vcc
	v_addc_co_u32_e32 v9, vcc, 0, v9, vcc
	v_add_co_u32_e32 v8, vcc, v10, v8
	v_addc_co_u32_e32 v9, vcc, 0, v9, vcc
	v_add_co_u32_e32 v4, vcc, v4, v8
	v_addc_co_u32_e32 v9, vcc, v7, v9, vcc
	v_mad_u64_u32 v[7:8], s[0:1], v5, v9, 0
	v_mul_hi_u32 v10, v5, v4
	v_add_co_u32_e32 v11, vcc, v10, v7
	v_addc_co_u32_e32 v14, vcc, 0, v8, vcc
	v_mad_u64_u32 v[7:8], s[0:1], v6, v4, 0
	v_mad_u64_u32 v[9:10], s[0:1], v6, v9, 0
	v_add_co_u32_e32 v4, vcc, v11, v7
	v_addc_co_u32_e32 v4, vcc, v14, v8, vcc
	v_addc_co_u32_e32 v7, vcc, 0, v10, vcc
	v_add_co_u32_e32 v4, vcc, v4, v9
	v_addc_co_u32_e32 v9, vcc, 0, v7, vcc
	v_mul_lo_u32 v10, s25, v4
	v_mul_lo_u32 v11, s24, v9
	v_mad_u64_u32 v[7:8], s[0:1], s24, v4, 0
	v_add3_u32 v8, v8, v11, v10
	v_sub_u32_e32 v10, v6, v8
	v_mov_b32_e32 v11, s25
	v_sub_co_u32_e32 v7, vcc, v5, v7
	v_subb_co_u32_e64 v10, s[0:1], v10, v11, vcc
	v_subrev_co_u32_e64 v11, s[0:1], s24, v7
	v_subbrev_co_u32_e64 v10, s[0:1], 0, v10, s[0:1]
	v_cmp_le_u32_e64 s[0:1], s25, v10
	v_cndmask_b32_e64 v14, 0, -1, s[0:1]
	v_cmp_le_u32_e64 s[0:1], s24, v11
	v_cndmask_b32_e64 v11, 0, -1, s[0:1]
	v_cmp_eq_u32_e64 s[0:1], s25, v10
	v_cndmask_b32_e64 v10, v14, v11, s[0:1]
	v_add_co_u32_e64 v11, s[0:1], 2, v4
	v_addc_co_u32_e64 v14, s[0:1], 0, v9, s[0:1]
	v_add_co_u32_e64 v16, s[0:1], 1, v4
	v_addc_co_u32_e64 v15, s[0:1], 0, v9, s[0:1]
	v_subb_co_u32_e32 v8, vcc, v6, v8, vcc
	v_cmp_ne_u32_e64 s[0:1], 0, v10
	v_cmp_le_u32_e32 vcc, s25, v8
	v_cndmask_b32_e64 v10, v15, v14, s[0:1]
	v_cndmask_b32_e64 v14, 0, -1, vcc
	v_cmp_le_u32_e32 vcc, s24, v7
	v_cndmask_b32_e64 v7, 0, -1, vcc
	v_cmp_eq_u32_e32 vcc, s25, v8
	v_cndmask_b32_e32 v7, v14, v7, vcc
	v_cmp_ne_u32_e32 vcc, 0, v7
	v_cndmask_b32_e64 v7, v16, v11, s[0:1]
	v_cndmask_b32_e32 v15, v9, v10, vcc
	v_cndmask_b32_e32 v14, v4, v7, vcc
.LBB0_4:                                ;   in Loop: Header=BB0_2 Depth=1
	s_andn2_saveexec_b64 s[0:1], s[26:27]
	s_cbranch_execz .LBB0_6
; %bb.5:                                ;   in Loop: Header=BB0_2 Depth=1
	v_cvt_f32_u32_e32 v4, s24
	s_sub_i32 s26, 0, s24
	v_mov_b32_e32 v15, v3
	v_rcp_iflag_f32_e32 v4, v4
	v_mul_f32_e32 v4, 0x4f7ffffe, v4
	v_cvt_u32_f32_e32 v4, v4
	v_mul_lo_u32 v7, s26, v4
	v_mul_hi_u32 v7, v4, v7
	v_add_u32_e32 v4, v4, v7
	v_mul_hi_u32 v4, v5, v4
	v_mul_lo_u32 v7, v4, s24
	v_add_u32_e32 v8, 1, v4
	v_sub_u32_e32 v7, v5, v7
	v_subrev_u32_e32 v9, s24, v7
	v_cmp_le_u32_e32 vcc, s24, v7
	v_cndmask_b32_e32 v7, v7, v9, vcc
	v_cndmask_b32_e32 v4, v4, v8, vcc
	v_add_u32_e32 v8, 1, v4
	v_cmp_le_u32_e32 vcc, s24, v7
	v_cndmask_b32_e32 v14, v4, v8, vcc
.LBB0_6:                                ;   in Loop: Header=BB0_2 Depth=1
	s_or_b64 exec, exec, s[0:1]
	v_mul_lo_u32 v4, v15, s24
	v_mul_lo_u32 v9, v14, s25
	v_mad_u64_u32 v[7:8], s[0:1], v14, s24, 0
	s_load_dwordx2 s[0:1], s[6:7], 0x0
	s_load_dwordx2 s[24:25], s[2:3], 0x0
	v_add3_u32 v4, v8, v9, v4
	v_sub_co_u32_e32 v5, vcc, v5, v7
	v_subb_co_u32_e32 v4, vcc, v6, v4, vcc
	s_waitcnt lgkmcnt(0)
	v_mul_lo_u32 v6, s0, v4
	v_mul_lo_u32 v7, s1, v5
	v_mad_u64_u32 v[1:2], s[0:1], s0, v5, v[1:2]
	v_mul_lo_u32 v4, s24, v4
	v_mul_lo_u32 v8, s25, v5
	v_mad_u64_u32 v[12:13], s[0:1], s24, v5, v[12:13]
	s_add_u32 s22, s22, 1
	s_addc_u32 s23, s23, 0
	s_add_u32 s2, s2, 8
	v_add3_u32 v13, v8, v13, v4
	s_addc_u32 s3, s3, 0
	v_mov_b32_e32 v4, s14
	s_add_u32 s6, s6, 8
	v_mov_b32_e32 v5, s15
	s_addc_u32 s7, s7, 0
	v_cmp_ge_u64_e32 vcc, s[22:23], v[4:5]
	s_add_u32 s20, s20, 8
	v_add3_u32 v2, v7, v2, v6
	s_addc_u32 s21, s21, 0
	s_cbranch_vccnz .LBB0_9
; %bb.7:                                ;   in Loop: Header=BB0_2 Depth=1
	v_mov_b32_e32 v5, v14
	v_mov_b32_e32 v6, v15
	s_branch .LBB0_2
.LBB0_8:
	v_mov_b32_e32 v13, v2
	v_mov_b32_e32 v15, v6
	;; [unrolled: 1-line block ×4, first 2 shown]
.LBB0_9:
	s_load_dwordx2 s[4:5], s[4:5], 0x28
	s_lshl_b64 s[6:7], s[14:15], 3
	s_add_u32 s2, s18, s6
	s_addc_u32 s3, s19, s7
                                        ; implicit-def: $vgpr16
	s_waitcnt lgkmcnt(0)
	v_cmp_gt_u64_e64 s[0:1], s[4:5], v[14:15]
	v_cmp_le_u64_e32 vcc, s[4:5], v[14:15]
	s_and_saveexec_b64 s[4:5], vcc
	s_xor_b64 s[4:5], exec, s[4:5]
; %bb.10:
	s_mov_b32 s14, 0x124924a
	v_mul_hi_u32 v1, v0, s14
	v_mul_u32_u24_e32 v1, 0xe0, v1
	v_sub_u32_e32 v16, v0, v1
                                        ; implicit-def: $vgpr0
                                        ; implicit-def: $vgpr1_vgpr2
; %bb.11:
	s_or_saveexec_b64 s[4:5], s[4:5]
	s_load_dwordx2 s[2:3], s[2:3], 0x0
	s_xor_b64 exec, exec, s[4:5]
	s_cbranch_execz .LBB0_15
; %bb.12:
	s_add_u32 s6, s16, s6
	s_addc_u32 s7, s17, s7
	s_load_dwordx2 s[6:7], s[6:7], 0x0
	s_mov_b32 s14, 0x124924a
	v_mul_hi_u32 v5, v0, s14
	v_lshlrev_b64 v[1:2], 3, v[1:2]
	s_waitcnt lgkmcnt(0)
	v_mul_lo_u32 v6, s7, v14
	v_mul_lo_u32 v7, s6, v15
	v_mad_u64_u32 v[3:4], s[6:7], s6, v14, 0
	v_mul_u32_u24_e32 v5, 0xe0, v5
	v_sub_u32_e32 v16, v0, v5
	v_add3_u32 v4, v4, v7, v6
	v_lshlrev_b64 v[3:4], 3, v[3:4]
	v_mov_b32_e32 v0, s9
	v_add_co_u32_e32 v3, vcc, s8, v3
	v_addc_co_u32_e32 v0, vcc, v0, v4, vcc
	v_add_co_u32_e32 v1, vcc, v3, v1
	v_addc_co_u32_e32 v0, vcc, v0, v2, vcc
	v_lshlrev_b32_e32 v25, 3, v16
	v_add_co_u32_e32 v2, vcc, v1, v25
	v_addc_co_u32_e32 v3, vcc, 0, v0, vcc
	s_movk_i32 s6, 0x1000
	v_add_co_u32_e32 v4, vcc, s6, v2
	v_addc_co_u32_e32 v5, vcc, 0, v3, vcc
	v_add_co_u32_e32 v6, vcc, 0x2000, v2
	v_addc_co_u32_e32 v7, vcc, 0, v3, vcc
	global_load_dwordx2 v[8:9], v[2:3], off
	global_load_dwordx2 v[10:11], v[2:3], off offset:1792
	global_load_dwordx2 v[17:18], v[2:3], off offset:3584
	;; [unrolled: 1-line block ×5, first 2 shown]
	s_movk_i32 s6, 0xdf
	v_add_u32_e32 v2, 0, v25
	v_cmp_eq_u32_e32 vcc, s6, v16
	v_add_u32_e32 v3, 0xe00, v2
	v_add_u32_e32 v4, 0x1c00, v2
	s_waitcnt vmcnt(4)
	ds_write2_b64 v2, v[8:9], v[10:11] offset1:224
	s_waitcnt vmcnt(2)
	ds_write2_b64 v3, v[17:18], v[19:20] offset1:224
	;; [unrolled: 2-line block ×3, first 2 shown]
	s_and_saveexec_b64 s[6:7], vcc
	s_cbranch_execz .LBB0_14
; %bb.13:
	v_add_co_u32_e32 v1, vcc, 0x2000, v1
	v_addc_co_u32_e32 v2, vcc, 0, v0, vcc
	global_load_dwordx2 v[0:1], v[1:2], off offset:2560
	v_mov_b32_e32 v2, 0
	v_mov_b32_e32 v16, 0xdf
	s_waitcnt vmcnt(0)
	ds_write_b64 v2, v[0:1] offset:10752
.LBB0_14:
	s_or_b64 exec, exec, s[6:7]
.LBB0_15:
	s_or_b64 exec, exec, s[4:5]
	v_lshlrev_b32_e32 v0, 3, v16
	v_add_u32_e32 v19, 0, v0
	s_waitcnt lgkmcnt(0)
	s_barrier
	v_sub_u32_e32 v4, 0, v0
	ds_read_b32 v5, v19
	ds_read_b32 v6, v4 offset:10752
	s_add_u32 s6, s12, 0x29f0
	s_addc_u32 s7, s13, 0
	v_cmp_ne_u32_e32 vcc, 0, v16
                                        ; implicit-def: $vgpr2_vgpr3
	s_waitcnt lgkmcnt(0)
	v_add_f32_e32 v0, v6, v5
	v_sub_f32_e32 v1, v5, v6
	s_and_saveexec_b64 s[4:5], vcc
	s_xor_b64 s[4:5], exec, s[4:5]
	s_cbranch_execz .LBB0_17
; %bb.16:
	v_mov_b32_e32 v17, 0
	v_lshlrev_b64 v[0:1], 3, v[16:17]
	v_mov_b32_e32 v2, s7
	v_add_co_u32_e32 v0, vcc, s6, v0
	v_addc_co_u32_e32 v1, vcc, v2, v1, vcc
	global_load_dwordx2 v[2:3], v[0:1], off
	ds_read_b32 v0, v4 offset:10756
	ds_read_b32 v1, v19 offset:4
	v_add_f32_e32 v7, v6, v5
	v_sub_f32_e32 v8, v5, v6
	s_waitcnt lgkmcnt(0)
	v_add_f32_e32 v9, v0, v1
	v_sub_f32_e32 v0, v1, v0
	s_waitcnt vmcnt(0)
	v_fma_f32 v10, v8, v3, v7
	v_fma_f32 v1, v9, v3, v0
	v_fma_f32 v5, -v8, v3, v7
	v_fma_f32 v6, v9, v3, -v0
	v_fma_f32 v0, -v2, v9, v10
	v_fmac_f32_e32 v1, v8, v2
	v_fmac_f32_e32 v5, v2, v9
	;; [unrolled: 1-line block ×3, first 2 shown]
	v_mov_b32_e32 v2, v16
	ds_write_b64 v4, v[5:6] offset:10752
	v_mov_b32_e32 v3, v17
.LBB0_17:
	s_andn2_saveexec_b64 s[4:5], s[4:5]
	s_cbranch_execz .LBB0_19
; %bb.18:
	v_mov_b32_e32 v7, 0
	ds_read_b64 v[2:3], v7 offset:5376
	s_waitcnt lgkmcnt(0)
	v_add_f32_e32 v5, v2, v2
	v_mul_f32_e32 v6, -2.0, v3
	v_mov_b32_e32 v2, 0
	v_mov_b32_e32 v3, 0
	ds_write_b64 v7, v[5:6] offset:5376
.LBB0_19:
	s_or_b64 exec, exec, s[4:5]
	v_lshlrev_b64 v[2:3], 3, v[2:3]
	v_mov_b32_e32 v5, s7
	v_add_co_u32_e32 v2, vcc, s6, v2
	v_addc_co_u32_e32 v3, vcc, v5, v3, vcc
	global_load_dwordx2 v[5:6], v[2:3], off offset:1792
	global_load_dwordx2 v[7:8], v[2:3], off offset:3584
	ds_write_b64 v19, v[0:1]
	ds_read_b64 v[0:1], v19 offset:1792
	ds_read_b64 v[2:3], v4 offset:8960
	v_and_b32_e32 v26, 1, v16
	v_add_u32_e32 v24, 0x1c0, v16
	s_movk_i32 s4, 0x1fc
	s_movk_i32 s5, 0x3fc
	s_waitcnt lgkmcnt(0)
	v_add_f32_e32 v9, v0, v2
	v_add_f32_e32 v10, v3, v1
	v_sub_f32_e32 v11, v0, v2
	v_sub_f32_e32 v0, v1, v3
	s_movk_i32 s6, 0x7fc
	s_waitcnt vmcnt(1)
	v_fma_f32 v17, v11, v6, v9
	v_fma_f32 v1, v10, v6, v0
	v_fma_f32 v2, -v11, v6, v9
	v_fma_f32 v3, v10, v6, -v0
	v_fma_f32 v0, -v5, v10, v17
	v_fmac_f32_e32 v1, v11, v5
	v_fmac_f32_e32 v2, v5, v10
	;; [unrolled: 1-line block ×3, first 2 shown]
	ds_write_b64 v19, v[0:1] offset:1792
	ds_write_b64 v4, v[2:3] offset:8960
	ds_read_b64 v[5:6], v19 offset:3584
	ds_read_b64 v[9:10], v4 offset:7168
	v_add_u32_e32 v0, 0xe00, v19
	v_add_u32_e32 v1, 0x1c00, v19
	v_lshl_add_u32 v11, v16, 3, v19
	v_add_u32_e32 v2, 0xe0, v16
	s_waitcnt lgkmcnt(0)
	v_add_f32_e32 v3, v5, v9
	v_add_f32_e32 v17, v10, v6
	v_sub_f32_e32 v18, v5, v9
	v_sub_f32_e32 v5, v6, v10
	s_waitcnt vmcnt(0)
	v_fma_f32 v20, v18, v8, v3
	v_fma_f32 v6, v17, v8, v5
	v_fma_f32 v9, -v18, v8, v3
	v_fma_f32 v10, v17, v8, -v5
	v_fma_f32 v5, -v7, v17, v20
	v_fmac_f32_e32 v6, v18, v7
	v_fmac_f32_e32 v9, v7, v17
	;; [unrolled: 1-line block ×3, first 2 shown]
	ds_write_b64 v19, v[5:6] offset:3584
	ds_write_b64 v4, v[9:10] offset:7168
	s_waitcnt lgkmcnt(0)
	s_barrier
	s_barrier
	ds_read2_b64 v[3:6], v19 offset1:224
	ds_read2_b64 v[7:10], v0 offset1:224
	;; [unrolled: 1-line block ×3, first 2 shown]
	v_lshl_add_u32 v25, v2, 4, 0
	s_waitcnt lgkmcnt(0)
	s_barrier
	v_sub_f32_e32 v9, v3, v9
	v_sub_f32_e32 v10, v4, v10
	;; [unrolled: 1-line block ×6, first 2 shown]
	v_fma_f32 v3, v3, 2.0, -v9
	v_fma_f32 v4, v4, 2.0, -v10
	v_lshlrev_b32_e32 v23, 3, v26
	v_fma_f32 v5, v5, 2.0, -v17
	v_fma_f32 v6, v6, 2.0, -v18
	v_lshl_add_u32 v22, v24, 4, 0
	v_fma_f32 v7, v7, 2.0, -v20
	v_fma_f32 v8, v8, 2.0, -v21
	ds_write2_b64 v11, v[3:4], v[9:10] offset1:1
	ds_write2_b64 v25, v[5:6], v[17:18] offset1:1
	ds_write2_b64 v22, v[7:8], v[20:21] offset1:1
	s_waitcnt lgkmcnt(0)
	s_barrier
	global_load_dwordx2 v[9:10], v23, s[12:13]
	v_add_u32_e32 v3, 0x1500, v19
	ds_read2_b64 v[5:8], v3 offset1:224
	ds_read2_b64 v[20:23], v19 offset1:224
	ds_read_b64 v[17:18], v19 offset:8960
	v_lshlrev_b32_e32 v4, 1, v16
	v_and_b32_e32 v11, 3, v16
	v_and_or_b32 v25, v4, s4, v26
	v_lshl_add_u32 v31, v25, 3, 0
	s_movk_i32 s4, 0x1f8
	s_waitcnt vmcnt(0) lgkmcnt(2)
	v_mul_f32_e32 v27, v10, v6
	v_mul_f32_e32 v28, v10, v5
	;; [unrolled: 1-line block ×4, first 2 shown]
	v_fma_f32 v5, v9, v5, -v27
	v_fmac_f32_e32 v28, v9, v6
	v_fma_f32 v6, v9, v7, -v29
	v_fmac_f32_e32 v30, v9, v8
	s_waitcnt lgkmcnt(0)
	v_mul_f32_e32 v7, v10, v18
	v_mul_f32_e32 v27, v9, v18
	v_fma_f32 v29, v9, v17, -v7
	v_fmac_f32_e32 v27, v10, v17
	v_sub_f32_e32 v7, v20, v5
	v_sub_f32_e32 v8, v21, v28
	;; [unrolled: 1-line block ×4, first 2 shown]
	v_fma_f32 v17, v20, 2.0, -v7
	v_fma_f32 v18, v21, 2.0, -v8
	;; [unrolled: 1-line block ×4, first 2 shown]
	ds_read_b32 v28, v19 offset:3588
	ds_read_b64 v[22:23], v19 offset:3584
	v_lshlrev_b32_e32 v5, 1, v2
	v_lshlrev_b32_e32 v6, 1, v24
	;; [unrolled: 1-line block ×3, first 2 shown]
	s_waitcnt lgkmcnt(0)
	v_sub_f32_e32 v24, v22, v29
	v_sub_f32_e32 v25, v23, v27
	v_and_or_b32 v23, v5, s5, v26
	v_and_or_b32 v26, v6, s6, v26
	v_lshl_add_u32 v27, v23, 3, 0
	v_lshl_add_u32 v26, v26, 3, 0
	s_barrier
	v_fma_f32 v22, v22, 2.0, -v24
	v_fma_f32 v23, v28, 2.0, -v25
	ds_write2_b64 v31, v[17:18], v[7:8] offset1:2
	ds_write2_b64 v27, v[20:21], v[9:10] offset1:2
	;; [unrolled: 1-line block ×3, first 2 shown]
	s_waitcnt lgkmcnt(0)
	s_barrier
	global_load_dwordx2 v[17:18], v30, s[12:13] offset:16
	ds_read2_b64 v[7:10], v3 offset1:224
	ds_read2_b64 v[20:23], v19 offset1:224
	ds_read_b64 v[24:25], v19 offset:8960
	s_movk_i32 s5, 0x3f8
	s_movk_i32 s6, 0x7f8
	s_waitcnt vmcnt(0) lgkmcnt(2)
	v_mul_f32_e32 v26, v18, v8
	v_mul_f32_e32 v27, v18, v7
	v_fma_f32 v26, v17, v7, -v26
	v_fmac_f32_e32 v27, v17, v8
	ds_read_b32 v30, v19 offset:3588
	ds_read_b64 v[7:8], v19 offset:3584
	v_mul_f32_e32 v28, v18, v10
	v_mul_f32_e32 v29, v18, v9
	v_fma_f32 v28, v17, v9, -v28
	s_waitcnt lgkmcnt(2)
	v_mul_f32_e32 v9, v18, v25
	v_mul_f32_e32 v25, v17, v25
	v_fmac_f32_e32 v29, v17, v10
	v_fma_f32 v31, v17, v24, -v9
	v_fmac_f32_e32 v25, v18, v24
	v_sub_f32_e32 v9, v20, v26
	v_sub_f32_e32 v10, v21, v27
	v_and_b32_e32 v26, 7, v16
	v_and_or_b32 v24, v4, s4, v11
	v_sub_f32_e32 v17, v22, v28
	v_sub_f32_e32 v18, v23, v29
	v_fma_f32 v20, v20, 2.0, -v9
	v_fma_f32 v21, v21, 2.0, -v10
	v_lshlrev_b32_e32 v27, 3, v26
	v_lshl_add_u32 v28, v24, 3, 0
	s_waitcnt lgkmcnt(0)
	v_sub_f32_e32 v24, v7, v31
	v_sub_f32_e32 v25, v8, v25
	v_and_or_b32 v8, v5, s5, v11
	v_and_or_b32 v11, v6, s6, v11
	v_fma_f32 v22, v22, 2.0, -v17
	v_fma_f32 v23, v23, 2.0, -v18
	v_lshl_add_u32 v29, v8, 3, 0
	v_lshl_add_u32 v11, v11, 3, 0
	s_barrier
	v_fma_f32 v7, v7, 2.0, -v24
	v_fma_f32 v8, v30, 2.0, -v25
	ds_write2_b64 v28, v[20:21], v[9:10] offset1:4
	ds_write2_b64 v29, v[22:23], v[17:18] offset1:4
	;; [unrolled: 1-line block ×3, first 2 shown]
	s_waitcnt lgkmcnt(0)
	s_barrier
	global_load_dwordx2 v[17:18], v27, s[12:13] offset:48
	ds_read2_b64 v[7:10], v3 offset1:224
	ds_read2_b64 v[20:23], v19 offset1:224
	ds_read_b64 v[24:25], v19 offset:8960
	s_movk_i32 s4, 0x1f0
	s_movk_i32 s5, 0x3f0
	;; [unrolled: 1-line block ×3, first 2 shown]
	s_waitcnt vmcnt(0) lgkmcnt(2)
	v_mul_f32_e32 v11, v18, v8
	v_mul_f32_e32 v27, v18, v7
	v_fma_f32 v11, v17, v7, -v11
	v_fmac_f32_e32 v27, v17, v8
	ds_read_b32 v30, v19 offset:3588
	ds_read_b64 v[7:8], v19 offset:3584
	v_mul_f32_e32 v28, v18, v10
	v_mul_f32_e32 v29, v18, v9
	v_fma_f32 v28, v17, v9, -v28
	s_waitcnt lgkmcnt(2)
	v_mul_f32_e32 v9, v18, v25
	v_mul_f32_e32 v25, v17, v25
	v_fmac_f32_e32 v29, v17, v10
	v_fma_f32 v31, v17, v24, -v9
	v_fmac_f32_e32 v25, v18, v24
	v_sub_f32_e32 v9, v20, v11
	v_sub_f32_e32 v10, v21, v27
	v_and_b32_e32 v11, 15, v16
	v_and_or_b32 v24, v4, s4, v26
	v_sub_f32_e32 v17, v22, v28
	v_sub_f32_e32 v18, v23, v29
	v_fma_f32 v20, v20, 2.0, -v9
	v_fma_f32 v21, v21, 2.0, -v10
	v_lshlrev_b32_e32 v27, 3, v11
	v_lshl_add_u32 v28, v24, 3, 0
	s_waitcnt lgkmcnt(0)
	v_sub_f32_e32 v24, v7, v31
	v_sub_f32_e32 v25, v8, v25
	v_and_or_b32 v8, v5, s5, v26
	v_and_or_b32 v26, v6, s6, v26
	v_fma_f32 v22, v22, 2.0, -v17
	v_fma_f32 v23, v23, 2.0, -v18
	v_lshl_add_u32 v29, v8, 3, 0
	v_lshl_add_u32 v26, v26, 3, 0
	s_barrier
	v_fma_f32 v7, v7, 2.0, -v24
	v_fma_f32 v8, v30, 2.0, -v25
	ds_write2_b64 v28, v[20:21], v[9:10] offset1:8
	ds_write2_b64 v29, v[22:23], v[17:18] offset1:8
	;; [unrolled: 1-line block ×3, first 2 shown]
	s_waitcnt lgkmcnt(0)
	s_barrier
	global_load_dwordx2 v[17:18], v27, s[12:13] offset:112
	ds_read2_b64 v[7:10], v3 offset1:224
	ds_read2_b64 v[20:23], v19 offset1:224
	ds_read_b64 v[24:25], v19 offset:8960
	s_movk_i32 s4, 0x1e0
	s_movk_i32 s5, 0x3e0
	;; [unrolled: 1-line block ×3, first 2 shown]
	s_waitcnt vmcnt(0) lgkmcnt(2)
	v_mul_f32_e32 v26, v18, v8
	v_mul_f32_e32 v27, v18, v7
	v_fma_f32 v26, v17, v7, -v26
	v_fmac_f32_e32 v27, v17, v8
	ds_read_b32 v30, v19 offset:3588
	ds_read_b64 v[7:8], v19 offset:3584
	v_mul_f32_e32 v28, v18, v10
	v_mul_f32_e32 v29, v18, v9
	v_fma_f32 v28, v17, v9, -v28
	s_waitcnt lgkmcnt(2)
	v_mul_f32_e32 v9, v18, v25
	v_mul_f32_e32 v25, v17, v25
	v_fmac_f32_e32 v29, v17, v10
	v_fma_f32 v31, v17, v24, -v9
	v_fmac_f32_e32 v25, v18, v24
	v_sub_f32_e32 v9, v20, v26
	v_sub_f32_e32 v10, v21, v27
	v_and_b32_e32 v26, 31, v16
	v_and_or_b32 v24, v4, s4, v11
	v_sub_f32_e32 v17, v22, v28
	v_sub_f32_e32 v18, v23, v29
	v_fma_f32 v20, v20, 2.0, -v9
	v_fma_f32 v21, v21, 2.0, -v10
	v_lshlrev_b32_e32 v27, 3, v26
	v_lshl_add_u32 v28, v24, 3, 0
	s_waitcnt lgkmcnt(0)
	v_sub_f32_e32 v24, v7, v31
	v_sub_f32_e32 v25, v8, v25
	v_and_or_b32 v8, v5, s5, v11
	v_and_or_b32 v11, v6, s6, v11
	v_fma_f32 v22, v22, 2.0, -v17
	v_fma_f32 v23, v23, 2.0, -v18
	v_lshl_add_u32 v29, v8, 3, 0
	v_lshl_add_u32 v11, v11, 3, 0
	s_barrier
	v_fma_f32 v7, v7, 2.0, -v24
	v_fma_f32 v8, v30, 2.0, -v25
	ds_write2_b64 v28, v[20:21], v[9:10] offset1:16
	ds_write2_b64 v29, v[22:23], v[17:18] offset1:16
	;; [unrolled: 1-line block ×3, first 2 shown]
	s_waitcnt lgkmcnt(0)
	s_barrier
	global_load_dwordx2 v[17:18], v27, s[12:13] offset:240
	s_movk_i32 s4, 0x1c0
	s_movk_i32 s5, 0x3c0
	s_movk_i32 s6, 0x7c0
	v_and_or_b32 v4, v4, s4, v26
	v_lshl_add_u32 v23, v4, 3, 0
	v_and_or_b32 v7, v5, s5, v26
	v_and_or_b32 v8, v6, s6, v26
	ds_read2_b64 v[3:6], v3 offset1:224
	v_lshl_add_u32 v24, v7, 3, 0
	v_lshl_add_u32 v25, v8, 3, 0
	ds_read2_b64 v[7:10], v19 offset1:224
	ds_read_b64 v[20:21], v19 offset:8960
	v_and_b32_e32 v11, 63, v16
	v_lshlrev_b32_e32 v22, 4, v11
	s_movk_i32 s4, 0xc0
	v_cmp_gt_u32_e32 vcc, s4, v16
	s_waitcnt vmcnt(0) lgkmcnt(2)
	v_mul_f32_e32 v26, v18, v4
	v_mul_f32_e32 v27, v18, v3
	v_fma_f32 v26, v17, v3, -v26
	v_fmac_f32_e32 v27, v17, v4
	ds_read_b32 v30, v19 offset:3588
	ds_read_b64 v[3:4], v19 offset:3584
	v_mul_f32_e32 v28, v18, v6
	v_mul_f32_e32 v29, v18, v5
	v_fma_f32 v28, v17, v5, -v28
	s_waitcnt lgkmcnt(2)
	v_mul_f32_e32 v5, v18, v21
	v_mul_f32_e32 v21, v17, v21
	v_fmac_f32_e32 v29, v17, v6
	v_fma_f32 v31, v17, v20, -v5
	v_fmac_f32_e32 v21, v18, v20
	v_sub_f32_e32 v5, v7, v26
	v_sub_f32_e32 v6, v8, v27
	v_sub_f32_e32 v17, v9, v28
	v_sub_f32_e32 v18, v10, v29
	s_waitcnt lgkmcnt(0)
	v_sub_f32_e32 v20, v3, v31
	v_sub_f32_e32 v21, v4, v21
	v_fma_f32 v7, v7, 2.0, -v5
	v_fma_f32 v8, v8, 2.0, -v6
	s_barrier
	v_fma_f32 v9, v9, 2.0, -v17
	v_fma_f32 v10, v10, 2.0, -v18
	v_fma_f32 v3, v3, 2.0, -v20
	v_fma_f32 v4, v30, 2.0, -v21
	ds_write2_b64 v23, v[7:8], v[5:6] offset1:32
	ds_write2_b64 v24, v[9:10], v[17:18] offset1:32
	;; [unrolled: 1-line block ×3, first 2 shown]
	v_and_b32_e32 v7, 63, v2
	s_waitcnt lgkmcnt(0)
	s_barrier
	global_load_dwordx4 v[3:6], v22, s[12:13] offset:496
	v_lshlrev_b32_e32 v8, 4, v7
	global_load_dwordx4 v[20:23], v8, s[12:13] offset:496
	v_lshrrev_b32_e32 v8, 6, v16
	ds_read2_b64 v[24:27], v0 offset1:224
	ds_read2_b64 v[28:31], v1 offset1:224
	v_mul_u32_u24_e32 v8, 0xc0, v8
	v_lshrrev_b32_e32 v2, 6, v2
	v_or_b32_e32 v8, v8, v11
	v_mul_u32_u24_e32 v2, 0xc0, v2
	v_lshl_add_u32 v17, v8, 3, 0
	ds_read2_b64 v[8:11], v19 offset1:224
	v_or_b32_e32 v0, v2, v7
	v_lshl_add_u32 v18, v0, 3, 0
	s_waitcnt vmcnt(0) lgkmcnt(0)
	s_barrier
	v_mul_f32_e32 v0, v4, v25
	v_mul_f32_e32 v1, v4, v24
	v_mul_f32_e32 v2, v6, v29
	v_mul_f32_e32 v4, v6, v28
	v_fma_f32 v0, v3, v24, -v0
	v_fmac_f32_e32 v1, v3, v25
	v_fma_f32 v2, v5, v28, -v2
	v_fmac_f32_e32 v4, v5, v29
	v_mul_f32_e32 v3, v21, v27
	v_mul_f32_e32 v5, v21, v26
	;; [unrolled: 1-line block ×4, first 2 shown]
	v_fma_f32 v3, v20, v26, -v3
	v_fmac_f32_e32 v5, v20, v27
	v_fma_f32 v6, v22, v30, -v6
	v_fmac_f32_e32 v7, v22, v31
	v_add_f32_e32 v21, v1, v9
	v_add_f32_e32 v22, v1, v4
	;; [unrolled: 1-line block ×3, first 2 shown]
	v_sub_f32_e32 v26, v5, v7
	v_add_f32_e32 v27, v11, v5
	v_add_f32_e32 v28, v5, v7
	;; [unrolled: 1-line block ×4, first 2 shown]
	v_sub_f32_e32 v20, v1, v4
	v_add_f32_e32 v23, v0, v8
	v_sub_f32_e32 v30, v3, v6
	v_add_f32_e32 v1, v21, v4
	v_add_f32_e32 v6, v5, v6
	v_fma_f32 v4, -0.5, v24, v8
	v_fma_f32 v5, -0.5, v22, v9
	;; [unrolled: 1-line block ×3, first 2 shown]
	v_fmac_f32_e32 v11, -0.5, v28
	v_sub_f32_e32 v25, v0, v2
	v_add_f32_e32 v0, v23, v2
	v_mov_b32_e32 v2, v4
	v_mov_b32_e32 v3, v5
	;; [unrolled: 1-line block ×4, first 2 shown]
	v_add_f32_e32 v7, v27, v7
	v_fmac_f32_e32 v4, 0xbf5db3d7, v20
	v_fmac_f32_e32 v5, 0x3f5db3d7, v25
	;; [unrolled: 1-line block ×8, first 2 shown]
	ds_write_b64 v17, v[4:5] offset:1024
	ds_write2st64_b64 v17, v[0:1], v[2:3] offset1:1
	ds_write2st64_b64 v18, v[6:7], v[8:9] offset1:1
	ds_write_b64 v18, v[10:11] offset:1024
	s_waitcnt lgkmcnt(0)
	s_barrier
	s_waitcnt lgkmcnt(0)
                                        ; implicit-def: $vgpr18
	s_and_saveexec_b64 s[4:5], vcc
	s_cbranch_execz .LBB0_21
; %bb.20:
	ds_read2st64_b64 v[0:3], v19 offset1:3
	ds_read2st64_b64 v[4:7], v19 offset0:6 offset1:9
	ds_read2st64_b64 v[8:11], v19 offset0:12 offset1:15
	ds_read_b64 v[17:18], v19 offset:9216
.LBB0_21:
	s_or_b64 exec, exec, s[4:5]
	s_waitcnt lgkmcnt(0)
	s_barrier
	s_and_saveexec_b64 s[4:5], vcc
	s_cbranch_execz .LBB0_23
; %bb.22:
	v_add_u32_e32 v20, 0xffffff40, v16
	v_cndmask_b32_e32 v20, v20, v16, vcc
	v_mul_i32_i24_e32 v20, 6, v20
	v_mov_b32_e32 v21, 0
	v_lshlrev_b64 v[20:21], 3, v[20:21]
	v_mov_b32_e32 v22, s13
	v_add_co_u32_e32 v28, vcc, s12, v20
	v_addc_co_u32_e32 v29, vcc, v22, v21, vcc
	global_load_dwordx4 v[20:23], v[28:29], off offset:1552
	s_mov_b32 s8, 0xbf3bfb3b
	s_mov_b32 s6, 0xbeae86e6
	;; [unrolled: 1-line block ×3, first 2 shown]
	s_waitcnt vmcnt(0)
	v_mul_f32_e32 v24, v18, v23
	v_mul_f32_e32 v25, v11, v21
	;; [unrolled: 1-line block ×4, first 2 shown]
	v_fma_f32 v17, v17, v22, -v24
	v_fma_f32 v10, v10, v20, -v25
	v_fmac_f32_e32 v30, v18, v22
	v_fmac_f32_e32 v31, v11, v20
	global_load_dwordx4 v[20:23], v[28:29], off offset:1536
	global_load_dwordx4 v[24:27], v[28:29], off offset:1520
	s_waitcnt vmcnt(1)
	v_mul_f32_e32 v11, v9, v23
	v_mul_f32_e32 v18, v7, v21
	;; [unrolled: 1-line block ×3, first 2 shown]
	v_fma_f32 v11, v8, v22, -v11
	v_mul_f32_e32 v8, v8, v23
	v_fma_f32 v6, v6, v20, -v18
	v_fmac_f32_e32 v21, v7, v20
	s_waitcnt vmcnt(0)
	v_mul_f32_e32 v18, v2, v25
	v_mul_f32_e32 v20, v4, v27
	v_fmac_f32_e32 v8, v9, v22
	v_mul_f32_e32 v9, v3, v25
	v_mul_f32_e32 v7, v5, v27
	v_fmac_f32_e32 v18, v3, v24
	v_fmac_f32_e32 v20, v5, v26
	v_fma_f32 v2, v2, v24, -v9
	v_fma_f32 v4, v4, v26, -v7
	v_add_f32_e32 v9, v18, v30
	v_add_f32_e32 v22, v21, v8
	;; [unrolled: 1-line block ×3, first 2 shown]
	v_sub_f32_e32 v3, v2, v17
	v_sub_f32_e32 v5, v11, v6
	;; [unrolled: 1-line block ×3, first 2 shown]
	v_add_f32_e32 v2, v2, v17
	v_add_f32_e32 v6, v6, v11
	;; [unrolled: 1-line block ×3, first 2 shown]
	v_sub_f32_e32 v11, v20, v31
	v_sub_f32_e32 v20, v9, v22
	v_add_f32_e32 v24, v23, v9
	v_sub_f32_e32 v25, v2, v6
	v_sub_f32_e32 v26, v6, v4
	v_add_f32_e32 v27, v4, v2
	v_sub_f32_e32 v29, v4, v2
	v_mul_f32_e32 v4, 0x3f4a47b2, v20
	v_add_f32_e32 v2, v22, v24
	v_sub_f32_e32 v10, v18, v30
	v_sub_f32_e32 v8, v8, v21
	;; [unrolled: 1-line block ×4, first 2 shown]
	v_add_f32_e32 v5, v5, v7
	v_sub_f32_e32 v21, v22, v23
	v_mul_f32_e32 v20, 0x3f4a47b2, v25
	v_add_f32_e32 v1, v1, v2
	v_mov_b32_e32 v25, v4
	v_sub_f32_e32 v28, v10, v8
	v_sub_f32_e32 v9, v23, v9
	;; [unrolled: 1-line block ×3, first 2 shown]
	v_add_f32_e32 v8, v8, v11
	v_sub_f32_e32 v7, v7, v3
	v_mul_f32_e32 v18, 0xbf08b237, v18
	v_add_f32_e32 v30, v5, v3
	v_mul_f32_e32 v5, 0x3d64c772, v21
	v_add_f32_e32 v3, v6, v27
	v_fmac_f32_e32 v25, 0x3d64c772, v21
	v_mov_b32_e32 v21, v1
	v_mul_f32_e32 v6, 0xbf08b237, v23
	v_add_f32_e32 v8, v8, v10
	v_add_f32_e32 v0, v0, v3
	v_mul_f32_e32 v23, 0x3f5ff5aa, v7
	v_mov_b32_e32 v24, v18
	v_mov_b32_e32 v27, v20
	v_fmac_f32_e32 v21, 0xbf955555, v2
	v_fma_f32 v4, v9, s8, -v4
	v_sub_f32_e32 v10, v11, v10
	v_mul_f32_e32 v22, 0x3d64c772, v26
	v_fma_f32 v23, v17, s6, -v23
	v_fmac_f32_e32 v24, 0x3eae86e6, v17
	v_mov_b32_e32 v17, v6
	v_fmac_f32_e32 v27, 0x3d64c772, v26
	v_mov_b32_e32 v26, v0
	v_add_f32_e32 v31, v4, v21
	v_mul_f32_e32 v4, 0x3f5ff5aa, v10
	v_fmac_f32_e32 v17, 0x3eae86e6, v28
	v_fmac_f32_e32 v26, 0xbf955555, v3
	v_fma_f32 v28, v28, s6, -v4
	s_mov_b32 s6, 0x3f3bfb3b
	v_fmac_f32_e32 v24, 0x3ee1c552, v30
	v_fmac_f32_e32 v17, 0x3ee1c552, v8
	v_add_f32_e32 v25, v25, v21
	v_add_f32_e32 v27, v27, v26
	v_fma_f32 v9, v9, s6, -v5
	v_fma_f32 v4, v29, s8, -v20
	;; [unrolled: 1-line block ×5, first 2 shown]
	v_sub_f32_e32 v2, v27, v17
	v_fmac_f32_e32 v23, 0x3ee1c552, v30
	v_add_f32_e32 v20, v4, v26
	v_fmac_f32_e32 v28, 0x3ee1c552, v8
	v_add_f32_e32 v9, v9, v21
	v_fmac_f32_e32 v11, 0x3ee1c552, v30
	v_fmac_f32_e32 v10, 0x3ee1c552, v8
	v_add_f32_e32 v8, v6, v26
	v_sub_f32_e32 v18, v25, v24
	v_add_f32_e32 v17, v17, v27
	v_add_f32_e32 v3, v24, v25
	;; [unrolled: 1-line block ×3, first 2 shown]
	v_sub_f32_e32 v4, v20, v28
	v_sub_f32_e32 v7, v9, v11
	v_add_f32_e32 v6, v10, v8
	v_add_f32_e32 v9, v11, v9
	v_sub_f32_e32 v8, v8, v10
	v_sub_f32_e32 v11, v31, v23
	v_add_f32_e32 v10, v28, v20
	ds_write2st64_b64 v19, v[0:1], v[17:18] offset1:3
	ds_write2st64_b64 v19, v[10:11], v[8:9] offset0:6 offset1:9
	ds_write2st64_b64 v19, v[6:7], v[4:5] offset0:12 offset1:15
	ds_write_b64 v19, v[2:3] offset:9216
.LBB0_23:
	s_or_b64 exec, exec, s[4:5]
	s_waitcnt lgkmcnt(0)
	s_barrier
	s_and_saveexec_b64 s[4:5], s[0:1]
	s_cbranch_execz .LBB0_25
; %bb.24:
	v_mul_lo_u32 v0, s3, v14
	v_mul_lo_u32 v1, s2, v15
	v_mad_u64_u32 v[4:5], s[0:1], s2, v14, 0
	v_mov_b32_e32 v7, s11
	v_lshl_add_u32 v6, v16, 3, 0
	v_add3_u32 v5, v5, v1, v0
	v_lshlrev_b64 v[4:5], 3, v[4:5]
	v_mov_b32_e32 v17, 0
	v_add_co_u32_e32 v8, vcc, s10, v4
	v_addc_co_u32_e32 v7, vcc, v7, v5, vcc
	v_lshlrev_b64 v[4:5], 3, v[12:13]
	ds_read2_b64 v[0:3], v6 offset1:224
	v_add_co_u32_e32 v8, vcc, v8, v4
	v_addc_co_u32_e32 v7, vcc, v7, v5, vcc
	v_lshlrev_b64 v[4:5], 3, v[16:17]
	v_add_co_u32_e32 v4, vcc, v8, v4
	v_addc_co_u32_e32 v5, vcc, v7, v5, vcc
	s_waitcnt lgkmcnt(0)
	global_store_dwordx2 v[4:5], v[0:1], off
	v_add_u32_e32 v0, 0xe0, v16
	v_mov_b32_e32 v1, v17
	v_lshlrev_b64 v[0:1], 3, v[0:1]
	v_add_u32_e32 v4, 0x1c0, v16
	v_add_co_u32_e32 v0, vcc, v8, v0
	v_addc_co_u32_e32 v1, vcc, v7, v1, vcc
	global_store_dwordx2 v[0:1], v[2:3], off
	v_add_u32_e32 v0, 0xe00, v6
	v_mov_b32_e32 v5, v17
	ds_read2_b64 v[0:3], v0 offset1:224
	v_lshlrev_b64 v[4:5], 3, v[4:5]
	v_add_co_u32_e32 v4, vcc, v8, v4
	v_addc_co_u32_e32 v5, vcc, v7, v5, vcc
	s_waitcnt lgkmcnt(0)
	global_store_dwordx2 v[4:5], v[0:1], off
	v_add_u32_e32 v0, 0x2a0, v16
	v_mov_b32_e32 v1, v17
	v_lshlrev_b64 v[0:1], 3, v[0:1]
	v_add_u32_e32 v4, 0x380, v16
	v_add_co_u32_e32 v0, vcc, v8, v0
	v_addc_co_u32_e32 v1, vcc, v7, v1, vcc
	global_store_dwordx2 v[0:1], v[2:3], off
	v_add_u32_e32 v0, 0x1c00, v6
	v_mov_b32_e32 v5, v17
	ds_read2_b64 v[0:3], v0 offset1:224
	v_lshlrev_b64 v[4:5], 3, v[4:5]
	v_add_u32_e32 v16, 0x460, v16
	v_add_co_u32_e32 v4, vcc, v8, v4
	v_addc_co_u32_e32 v5, vcc, v7, v5, vcc
	s_waitcnt lgkmcnt(0)
	global_store_dwordx2 v[4:5], v[0:1], off
	v_lshlrev_b64 v[0:1], 3, v[16:17]
	v_add_co_u32_e32 v0, vcc, v8, v0
	v_addc_co_u32_e32 v1, vcc, v7, v1, vcc
	global_store_dwordx2 v[0:1], v[2:3], off
.LBB0_25:
	s_endpgm
	.section	.rodata,"a",@progbits
	.p2align	6, 0x0
	.amdhsa_kernel fft_rtc_fwd_len1344_factors_2_2_2_2_2_2_3_7_wgs_224_tpt_224_halfLds_sp_op_CI_CI_unitstride_sbrr_C2R_dirReg
		.amdhsa_group_segment_fixed_size 0
		.amdhsa_private_segment_fixed_size 0
		.amdhsa_kernarg_size 104
		.amdhsa_user_sgpr_count 6
		.amdhsa_user_sgpr_private_segment_buffer 1
		.amdhsa_user_sgpr_dispatch_ptr 0
		.amdhsa_user_sgpr_queue_ptr 0
		.amdhsa_user_sgpr_kernarg_segment_ptr 1
		.amdhsa_user_sgpr_dispatch_id 0
		.amdhsa_user_sgpr_flat_scratch_init 0
		.amdhsa_user_sgpr_private_segment_size 0
		.amdhsa_uses_dynamic_stack 0
		.amdhsa_system_sgpr_private_segment_wavefront_offset 0
		.amdhsa_system_sgpr_workgroup_id_x 1
		.amdhsa_system_sgpr_workgroup_id_y 0
		.amdhsa_system_sgpr_workgroup_id_z 0
		.amdhsa_system_sgpr_workgroup_info 0
		.amdhsa_system_vgpr_workitem_id 0
		.amdhsa_next_free_vgpr 32
		.amdhsa_next_free_sgpr 28
		.amdhsa_reserve_vcc 1
		.amdhsa_reserve_flat_scratch 0
		.amdhsa_float_round_mode_32 0
		.amdhsa_float_round_mode_16_64 0
		.amdhsa_float_denorm_mode_32 3
		.amdhsa_float_denorm_mode_16_64 3
		.amdhsa_dx10_clamp 1
		.amdhsa_ieee_mode 1
		.amdhsa_fp16_overflow 0
		.amdhsa_exception_fp_ieee_invalid_op 0
		.amdhsa_exception_fp_denorm_src 0
		.amdhsa_exception_fp_ieee_div_zero 0
		.amdhsa_exception_fp_ieee_overflow 0
		.amdhsa_exception_fp_ieee_underflow 0
		.amdhsa_exception_fp_ieee_inexact 0
		.amdhsa_exception_int_div_zero 0
	.end_amdhsa_kernel
	.text
.Lfunc_end0:
	.size	fft_rtc_fwd_len1344_factors_2_2_2_2_2_2_3_7_wgs_224_tpt_224_halfLds_sp_op_CI_CI_unitstride_sbrr_C2R_dirReg, .Lfunc_end0-fft_rtc_fwd_len1344_factors_2_2_2_2_2_2_3_7_wgs_224_tpt_224_halfLds_sp_op_CI_CI_unitstride_sbrr_C2R_dirReg
                                        ; -- End function
	.section	.AMDGPU.csdata,"",@progbits
; Kernel info:
; codeLenInByte = 5280
; NumSgprs: 32
; NumVgprs: 32
; ScratchSize: 0
; MemoryBound: 0
; FloatMode: 240
; IeeeMode: 1
; LDSByteSize: 0 bytes/workgroup (compile time only)
; SGPRBlocks: 3
; VGPRBlocks: 7
; NumSGPRsForWavesPerEU: 32
; NumVGPRsForWavesPerEU: 32
; Occupancy: 8
; WaveLimiterHint : 1
; COMPUTE_PGM_RSRC2:SCRATCH_EN: 0
; COMPUTE_PGM_RSRC2:USER_SGPR: 6
; COMPUTE_PGM_RSRC2:TRAP_HANDLER: 0
; COMPUTE_PGM_RSRC2:TGID_X_EN: 1
; COMPUTE_PGM_RSRC2:TGID_Y_EN: 0
; COMPUTE_PGM_RSRC2:TGID_Z_EN: 0
; COMPUTE_PGM_RSRC2:TIDIG_COMP_CNT: 0
	.type	__hip_cuid_e5027efc0221b37b,@object ; @__hip_cuid_e5027efc0221b37b
	.section	.bss,"aw",@nobits
	.globl	__hip_cuid_e5027efc0221b37b
__hip_cuid_e5027efc0221b37b:
	.byte	0                               ; 0x0
	.size	__hip_cuid_e5027efc0221b37b, 1

	.ident	"AMD clang version 19.0.0git (https://github.com/RadeonOpenCompute/llvm-project roc-6.4.0 25133 c7fe45cf4b819c5991fe208aaa96edf142730f1d)"
	.section	".note.GNU-stack","",@progbits
	.addrsig
	.addrsig_sym __hip_cuid_e5027efc0221b37b
	.amdgpu_metadata
---
amdhsa.kernels:
  - .args:
      - .actual_access:  read_only
        .address_space:  global
        .offset:         0
        .size:           8
        .value_kind:     global_buffer
      - .offset:         8
        .size:           8
        .value_kind:     by_value
      - .actual_access:  read_only
        .address_space:  global
        .offset:         16
        .size:           8
        .value_kind:     global_buffer
      - .actual_access:  read_only
        .address_space:  global
        .offset:         24
        .size:           8
        .value_kind:     global_buffer
      - .actual_access:  read_only
        .address_space:  global
        .offset:         32
        .size:           8
        .value_kind:     global_buffer
      - .offset:         40
        .size:           8
        .value_kind:     by_value
      - .actual_access:  read_only
        .address_space:  global
        .offset:         48
        .size:           8
        .value_kind:     global_buffer
      - .actual_access:  read_only
        .address_space:  global
        .offset:         56
        .size:           8
        .value_kind:     global_buffer
      - .offset:         64
        .size:           4
        .value_kind:     by_value
      - .actual_access:  read_only
        .address_space:  global
        .offset:         72
        .size:           8
        .value_kind:     global_buffer
      - .actual_access:  read_only
        .address_space:  global
        .offset:         80
        .size:           8
        .value_kind:     global_buffer
      - .actual_access:  read_only
        .address_space:  global
        .offset:         88
        .size:           8
        .value_kind:     global_buffer
      - .actual_access:  write_only
        .address_space:  global
        .offset:         96
        .size:           8
        .value_kind:     global_buffer
    .group_segment_fixed_size: 0
    .kernarg_segment_align: 8
    .kernarg_segment_size: 104
    .language:       OpenCL C
    .language_version:
      - 2
      - 0
    .max_flat_workgroup_size: 224
    .name:           fft_rtc_fwd_len1344_factors_2_2_2_2_2_2_3_7_wgs_224_tpt_224_halfLds_sp_op_CI_CI_unitstride_sbrr_C2R_dirReg
    .private_segment_fixed_size: 0
    .sgpr_count:     32
    .sgpr_spill_count: 0
    .symbol:         fft_rtc_fwd_len1344_factors_2_2_2_2_2_2_3_7_wgs_224_tpt_224_halfLds_sp_op_CI_CI_unitstride_sbrr_C2R_dirReg.kd
    .uniform_work_group_size: 1
    .uses_dynamic_stack: false
    .vgpr_count:     32
    .vgpr_spill_count: 0
    .wavefront_size: 64
amdhsa.target:   amdgcn-amd-amdhsa--gfx906
amdhsa.version:
  - 1
  - 2
...

	.end_amdgpu_metadata
